;; amdgpu-corpus repo=ROCm/rocFFT kind=compiled arch=gfx950 opt=O3
	.text
	.amdgcn_target "amdgcn-amd-amdhsa--gfx950"
	.amdhsa_code_object_version 6
	.protected	fft_rtc_fwd_len1323_factors_3_3_3_7_7_wgs_189_tpt_189_sp_op_CI_CI_sbrr_dirReg ; -- Begin function fft_rtc_fwd_len1323_factors_3_3_3_7_7_wgs_189_tpt_189_sp_op_CI_CI_sbrr_dirReg
	.globl	fft_rtc_fwd_len1323_factors_3_3_3_7_7_wgs_189_tpt_189_sp_op_CI_CI_sbrr_dirReg
	.p2align	8
	.type	fft_rtc_fwd_len1323_factors_3_3_3_7_7_wgs_189_tpt_189_sp_op_CI_CI_sbrr_dirReg,@function
fft_rtc_fwd_len1323_factors_3_3_3_7_7_wgs_189_tpt_189_sp_op_CI_CI_sbrr_dirReg: ; @fft_rtc_fwd_len1323_factors_3_3_3_7_7_wgs_189_tpt_189_sp_op_CI_CI_sbrr_dirReg
; %bb.0:
	s_load_dwordx4 s[12:15], s[0:1], 0x18
	s_load_dwordx4 s[8:11], s[0:1], 0x0
	;; [unrolled: 1-line block ×3, first 2 shown]
	v_mul_u32_u24_e32 v1, 0x15b, v0
	v_add_u32_sdwa v6, s2, v1 dst_sel:DWORD dst_unused:UNUSED_PAD src0_sel:DWORD src1_sel:WORD_1
	s_waitcnt lgkmcnt(0)
	s_load_dwordx2 s[18:19], s[12:13], 0x0
	s_load_dwordx2 s[16:17], s[14:15], 0x0
	v_mov_b32_e32 v4, 0
	v_cmp_lt_u64_e64 s[2:3], s[10:11], 2
	v_mov_b32_e32 v7, v4
	s_and_b64 vcc, exec, s[2:3]
	v_mov_b64_e32 v[2:3], 0
	s_cbranch_vccnz .LBB0_8
; %bb.1:
	s_load_dwordx2 s[2:3], s[0:1], 0x10
	s_add_u32 s20, s14, 8
	s_addc_u32 s21, s15, 0
	s_add_u32 s22, s12, 8
	s_addc_u32 s23, s13, 0
	s_waitcnt lgkmcnt(0)
	s_add_u32 s24, s2, 8
	v_mov_b64_e32 v[2:3], 0
	s_addc_u32 s25, s3, 0
	s_mov_b64 s[26:27], 1
	v_mov_b64_e32 v[8:9], v[2:3]
.LBB0_2:                                ; =>This Inner Loop Header: Depth=1
	s_load_dwordx2 s[28:29], s[24:25], 0x0
                                        ; implicit-def: $vgpr10_vgpr11
	s_waitcnt lgkmcnt(0)
	v_or_b32_e32 v5, s29, v7
	v_cmp_ne_u64_e32 vcc, 0, v[4:5]
	s_and_saveexec_b64 s[2:3], vcc
	s_xor_b64 s[30:31], exec, s[2:3]
	s_cbranch_execz .LBB0_4
; %bb.3:                                ;   in Loop: Header=BB0_2 Depth=1
	v_cvt_f32_u32_e32 v1, s28
	v_cvt_f32_u32_e32 v5, s29
	s_sub_u32 s2, 0, s28
	s_subb_u32 s3, 0, s29
	v_fmac_f32_e32 v1, 0x4f800000, v5
	v_rcp_f32_e32 v1, v1
	s_nop 0
	v_mul_f32_e32 v1, 0x5f7ffffc, v1
	v_mul_f32_e32 v5, 0x2f800000, v1
	v_trunc_f32_e32 v5, v5
	v_fmac_f32_e32 v1, 0xcf800000, v5
	v_cvt_u32_f32_e32 v5, v5
	v_cvt_u32_f32_e32 v1, v1
	v_mul_lo_u32 v10, s2, v5
	v_mul_hi_u32 v12, s2, v1
	v_mul_lo_u32 v11, s3, v1
	v_add_u32_e32 v12, v12, v10
	v_mul_lo_u32 v14, s2, v1
	v_add_u32_e32 v15, v12, v11
	v_mul_hi_u32 v10, v1, v14
	v_mul_hi_u32 v13, v1, v15
	v_mul_lo_u32 v12, v1, v15
	v_mov_b32_e32 v11, v4
	v_lshl_add_u64 v[10:11], v[10:11], 0, v[12:13]
	v_mul_hi_u32 v13, v5, v14
	v_mul_lo_u32 v14, v5, v14
	v_add_co_u32_e32 v10, vcc, v10, v14
	v_mul_hi_u32 v12, v5, v15
	s_nop 0
	v_addc_co_u32_e32 v10, vcc, v11, v13, vcc
	v_mov_b32_e32 v11, v4
	s_nop 0
	v_addc_co_u32_e32 v13, vcc, 0, v12, vcc
	v_mul_lo_u32 v12, v5, v15
	v_lshl_add_u64 v[10:11], v[10:11], 0, v[12:13]
	v_add_co_u32_e32 v1, vcc, v1, v10
	v_mul_lo_u32 v12, s2, v1
	s_nop 0
	v_addc_co_u32_e32 v5, vcc, v5, v11, vcc
	v_mul_lo_u32 v10, s2, v5
	v_mul_hi_u32 v11, s2, v1
	v_add_u32_e32 v10, v11, v10
	v_mul_lo_u32 v11, s3, v1
	v_add_u32_e32 v14, v10, v11
	v_mul_hi_u32 v16, v5, v12
	v_mul_lo_u32 v17, v5, v12
	v_mul_hi_u32 v11, v1, v14
	v_mul_lo_u32 v10, v1, v14
	v_mul_hi_u32 v12, v1, v12
	v_mov_b32_e32 v13, v4
	v_lshl_add_u64 v[10:11], v[12:13], 0, v[10:11]
	v_add_co_u32_e32 v10, vcc, v10, v17
	v_mul_hi_u32 v15, v5, v14
	s_nop 0
	v_addc_co_u32_e32 v10, vcc, v11, v16, vcc
	v_mul_lo_u32 v12, v5, v14
	s_nop 0
	v_addc_co_u32_e32 v13, vcc, 0, v15, vcc
	v_mov_b32_e32 v11, v4
	v_lshl_add_u64 v[10:11], v[10:11], 0, v[12:13]
	v_add_co_u32_e32 v1, vcc, v1, v10
	v_mul_hi_u32 v12, v6, v1
	s_nop 0
	v_addc_co_u32_e32 v5, vcc, v5, v11, vcc
	v_mad_u64_u32 v[10:11], s[2:3], v6, v5, 0
	v_mov_b32_e32 v13, v4
	v_lshl_add_u64 v[10:11], v[12:13], 0, v[10:11]
	v_mad_u64_u32 v[14:15], s[2:3], v7, v1, 0
	v_add_co_u32_e32 v1, vcc, v10, v14
	v_mad_u64_u32 v[12:13], s[2:3], v7, v5, 0
	s_nop 0
	v_addc_co_u32_e32 v10, vcc, v11, v15, vcc
	v_mov_b32_e32 v11, v4
	s_nop 0
	v_addc_co_u32_e32 v13, vcc, 0, v13, vcc
	v_lshl_add_u64 v[10:11], v[10:11], 0, v[12:13]
	v_mul_lo_u32 v1, s29, v10
	v_mul_lo_u32 v5, s28, v11
	v_mad_u64_u32 v[12:13], s[2:3], s28, v10, 0
	v_add3_u32 v1, v13, v5, v1
	v_sub_u32_e32 v5, v7, v1
	v_mov_b32_e32 v13, s29
	v_sub_co_u32_e32 v16, vcc, v6, v12
	v_lshl_add_u64 v[14:15], v[10:11], 0, 1
	s_nop 0
	v_subb_co_u32_e64 v5, s[2:3], v5, v13, vcc
	v_subrev_co_u32_e64 v12, s[2:3], s28, v16
	v_subb_co_u32_e32 v1, vcc, v7, v1, vcc
	s_nop 0
	v_subbrev_co_u32_e64 v5, s[2:3], 0, v5, s[2:3]
	v_cmp_le_u32_e64 s[2:3], s29, v5
	v_cmp_le_u32_e32 vcc, s29, v1
	s_nop 0
	v_cndmask_b32_e64 v13, 0, -1, s[2:3]
	v_cmp_le_u32_e64 s[2:3], s28, v12
	s_nop 1
	v_cndmask_b32_e64 v12, 0, -1, s[2:3]
	v_cmp_eq_u32_e64 s[2:3], s29, v5
	s_nop 1
	v_cndmask_b32_e64 v5, v13, v12, s[2:3]
	v_lshl_add_u64 v[12:13], v[10:11], 0, 2
	v_cmp_ne_u32_e64 s[2:3], 0, v5
	s_nop 1
	v_cndmask_b32_e64 v5, v15, v13, s[2:3]
	v_cndmask_b32_e64 v13, 0, -1, vcc
	v_cmp_le_u32_e32 vcc, s28, v16
	s_nop 1
	v_cndmask_b32_e64 v15, 0, -1, vcc
	v_cmp_eq_u32_e32 vcc, s29, v1
	s_nop 1
	v_cndmask_b32_e32 v1, v13, v15, vcc
	v_cmp_ne_u32_e32 vcc, 0, v1
	v_cndmask_b32_e64 v1, v14, v12, s[2:3]
	s_nop 0
	v_cndmask_b32_e32 v11, v11, v5, vcc
	v_cndmask_b32_e32 v10, v10, v1, vcc
.LBB0_4:                                ;   in Loop: Header=BB0_2 Depth=1
	s_andn2_saveexec_b64 s[2:3], s[30:31]
	s_cbranch_execz .LBB0_6
; %bb.5:                                ;   in Loop: Header=BB0_2 Depth=1
	v_cvt_f32_u32_e32 v1, s28
	s_sub_i32 s30, 0, s28
	v_rcp_iflag_f32_e32 v1, v1
	s_nop 0
	v_mul_f32_e32 v1, 0x4f7ffffe, v1
	v_cvt_u32_f32_e32 v1, v1
	v_mul_lo_u32 v5, s30, v1
	v_mul_hi_u32 v5, v1, v5
	v_add_u32_e32 v1, v1, v5
	v_mul_hi_u32 v1, v6, v1
	v_mul_lo_u32 v5, v1, s28
	v_sub_u32_e32 v5, v6, v5
	v_add_u32_e32 v10, 1, v1
	v_subrev_u32_e32 v11, s28, v5
	v_cmp_le_u32_e32 vcc, s28, v5
	s_nop 1
	v_cndmask_b32_e32 v5, v5, v11, vcc
	v_cndmask_b32_e32 v1, v1, v10, vcc
	v_add_u32_e32 v10, 1, v1
	v_cmp_le_u32_e32 vcc, s28, v5
	v_mov_b32_e32 v11, v4
	s_nop 0
	v_cndmask_b32_e32 v10, v1, v10, vcc
.LBB0_6:                                ;   in Loop: Header=BB0_2 Depth=1
	s_or_b64 exec, exec, s[2:3]
	v_mad_u64_u32 v[12:13], s[2:3], v10, s28, 0
	s_load_dwordx2 s[2:3], s[22:23], 0x0
	v_mul_lo_u32 v1, v11, s28
	v_mul_lo_u32 v5, v10, s29
	s_load_dwordx2 s[28:29], s[20:21], 0x0
	s_add_u32 s26, s26, 1
	v_add3_u32 v1, v13, v5, v1
	v_sub_co_u32_e32 v5, vcc, v6, v12
	s_addc_u32 s27, s27, 0
	s_nop 0
	v_subb_co_u32_e32 v1, vcc, v7, v1, vcc
	s_add_u32 s20, s20, 8
	s_waitcnt lgkmcnt(0)
	v_mul_lo_u32 v6, s2, v1
	v_mul_lo_u32 v7, s3, v5
	v_mad_u64_u32 v[2:3], s[2:3], s2, v5, v[2:3]
	s_addc_u32 s21, s21, 0
	v_add3_u32 v3, v7, v3, v6
	v_mul_lo_u32 v1, s28, v1
	v_mul_lo_u32 v6, s29, v5
	v_mad_u64_u32 v[8:9], s[2:3], s28, v5, v[8:9]
	s_add_u32 s22, s22, 8
	v_add3_u32 v9, v6, v9, v1
	s_addc_u32 s23, s23, 0
	v_mov_b64_e32 v[6:7], s[10:11]
	s_add_u32 s24, s24, 8
	v_cmp_ge_u64_e32 vcc, s[26:27], v[6:7]
	s_addc_u32 s25, s25, 0
	s_cbranch_vccnz .LBB0_9
; %bb.7:                                ;   in Loop: Header=BB0_2 Depth=1
	v_mov_b64_e32 v[6:7], v[10:11]
	s_branch .LBB0_2
.LBB0_8:
	v_mov_b64_e32 v[8:9], v[2:3]
	v_mov_b64_e32 v[10:11], v[6:7]
.LBB0_9:
	s_load_dwordx2 s[0:1], s[0:1], 0x28
	s_lshl_b64 s[20:21], s[10:11], 3
	s_add_u32 s2, s14, s20
	s_addc_u32 s3, s15, s21
                                        ; implicit-def: $sgpr14
                                        ; implicit-def: $vgpr28
                                        ; implicit-def: $vgpr30
	s_waitcnt lgkmcnt(0)
	v_cmp_gt_u64_e32 vcc, s[0:1], v[10:11]
	v_cmp_le_u64_e64 s[0:1], s[0:1], v[10:11]
	s_and_saveexec_b64 s[10:11], s[0:1]
	s_xor_b64 s[0:1], exec, s[10:11]
; %bb.10:
	s_mov_b32 s10, 0x15ac057
	v_mul_hi_u32 v1, v0, s10
	v_mul_u32_u24_e32 v1, 0xbd, v1
	v_sub_u32_e32 v28, v0, v1
	v_add_u32_e32 v30, 0xbd, v28
	s_mov_b32 s14, 0
                                        ; implicit-def: $vgpr0
                                        ; implicit-def: $vgpr2_vgpr3
; %bb.11:
	s_or_saveexec_b64 s[10:11], s[0:1]
	s_load_dwordx2 s[2:3], s[2:3], 0x0
	v_mov_b32_e32 v29, s14
                                        ; implicit-def: $vgpr26
                                        ; implicit-def: $vgpr16
                                        ; implicit-def: $vgpr14
                                        ; implicit-def: $vgpr4
                                        ; implicit-def: $vgpr6
                                        ; implicit-def: $vgpr18
                                        ; implicit-def: $vgpr20
                                        ; implicit-def: $vgpr22
                                        ; implicit-def: $vgpr24
	s_xor_b64 exec, exec, s[10:11]
	s_cbranch_execz .LBB0_15
; %bb.12:
	s_add_u32 s0, s12, s20
	s_addc_u32 s1, s13, s21
	s_load_dwordx2 s[0:1], s[0:1], 0x0
	s_mov_b32 s12, 0x15ac057
	s_waitcnt lgkmcnt(0)
	v_mul_lo_u32 v1, s1, v10
	v_mul_lo_u32 v6, s0, v11
	v_mad_u64_u32 v[4:5], s[0:1], s0, v10, 0
	v_add3_u32 v5, v5, v6, v1
	v_mul_hi_u32 v1, v0, s12
	v_mul_u32_u24_e32 v1, 0xbd, v1
	v_sub_u32_e32 v28, v0, v1
	v_mad_u64_u32 v[6:7], s[0:1], s18, v28, 0
	v_mov_b32_e32 v0, v7
	v_mad_u64_u32 v[0:1], s[0:1], s19, v28, v[0:1]
	v_mov_b32_e32 v7, v0
	v_lshl_add_u64 v[0:1], v[4:5], 3, s[4:5]
	v_lshl_add_u64 v[0:1], v[2:3], 3, v[0:1]
	;; [unrolled: 1-line block ×3, first 2 shown]
	v_add_u32_e32 v7, 0x1b9, v28
	v_mad_u64_u32 v[4:5], s[0:1], s18, v7, 0
	v_mov_b32_e32 v6, v5
	v_mad_u64_u32 v[6:7], s[0:1], s19, v7, v[6:7]
	v_mov_b32_e32 v5, v6
	v_add_u32_e32 v7, 0x372, v28
	v_lshl_add_u64 v[12:13], v[4:5], 3, v[0:1]
	v_mad_u64_u32 v[4:5], s[0:1], s18, v7, 0
	v_mov_b32_e32 v6, v5
	v_mad_u64_u32 v[6:7], s[0:1], s19, v7, v[6:7]
	v_mov_b32_e32 v5, v6
	v_add_u32_e32 v30, 0xbd, v28
	v_lshl_add_u64 v[14:15], v[4:5], 3, v[0:1]
	;; [unrolled: 6-line block ×4, first 2 shown]
	v_mad_u64_u32 v[4:5], s[0:1], s18, v7, 0
	v_mov_b32_e32 v6, v5
	v_mad_u64_u32 v[6:7], s[0:1], s19, v7, v[6:7]
	v_mov_b32_e32 v5, v6
	v_lshl_add_u64 v[32:33], v[4:5], 3, v[0:1]
	global_load_dwordx2 v[20:21], v[2:3], off
	global_load_dwordx2 v[22:23], v[12:13], off
	;; [unrolled: 1-line block ×6, first 2 shown]
	v_cmp_gt_u32_e64 s[0:1], 63, v28
                                        ; implicit-def: $vgpr15
                                        ; implicit-def: $vgpr17
                                        ; implicit-def: $vgpr27
	s_and_saveexec_b64 s[4:5], s[0:1]
	s_cbranch_execz .LBB0_14
; %bb.13:
	v_add_u32_e32 v13, 0x17a, v28
	v_mad_u64_u32 v[2:3], s[0:1], s18, v13, 0
	v_mov_b32_e32 v12, v3
	v_mad_u64_u32 v[12:13], s[0:1], s19, v13, v[12:13]
	v_add_u32_e32 v15, 0x333, v28
	v_mov_b32_e32 v3, v12
	v_mad_u64_u32 v[12:13], s[0:1], s18, v15, 0
	v_mov_b32_e32 v14, v13
	v_mad_u64_u32 v[14:15], s[0:1], s19, v15, v[14:15]
	v_add_u32_e32 v17, 0x4ec, v28
	v_mov_b32_e32 v13, v14
	v_mad_u64_u32 v[14:15], s[0:1], s18, v17, 0
	v_mov_b32_e32 v16, v15
	v_mad_u64_u32 v[16:17], s[0:1], s19, v17, v[16:17]
	v_lshl_add_u64 v[2:3], v[2:3], 3, v[0:1]
	v_mov_b32_e32 v15, v16
	v_lshl_add_u64 v[12:13], v[12:13], 3, v[0:1]
	v_lshl_add_u64 v[0:1], v[14:15], 3, v[0:1]
	global_load_dwordx2 v[14:15], v[2:3], off
	global_load_dwordx2 v[16:17], v[12:13], off
	;; [unrolled: 1-line block ×3, first 2 shown]
.LBB0_14:
	s_or_b64 exec, exec, s[4:5]
	v_mov_b32_e32 v29, v28
.LBB0_15:
	s_or_b64 exec, exec, s[10:11]
	s_waitcnt vmcnt(1)
	v_pk_add_f32 v[0:1], v[16:17], v[14:15]
	s_waitcnt vmcnt(0)
	v_pk_add_f32 v[2:3], v[16:17], v[26:27] neg_lo:[0,1] neg_hi:[0,1]
	v_pk_add_f32 v[12:13], v[26:27], v[0:1]
	v_pk_add_f32 v[0:1], v[26:27], v[16:17]
	s_mov_b32 s0, 0x3f5db3d7
	v_pk_fma_f32 v[0:1], v[0:1], 0.5, v[14:15] op_sel_hi:[1,0,1] neg_lo:[1,0,0] neg_hi:[1,0,0]
	v_pk_mul_f32 v[2:3], v[2:3], s[0:1] op_sel_hi:[1,0]
	v_mad_u32_u24 v26, v28, 24, 0
	v_pk_add_f32 v[14:15], v[0:1], v[2:3] op_sel:[0,1] op_sel_hi:[1,0]
	v_pk_add_f32 v[16:17], v[0:1], v[2:3] op_sel:[0,1] op_sel_hi:[1,0] neg_lo:[0,1] neg_hi:[0,1]
	v_pk_add_f32 v[2:3], v[22:23], v[24:25]
	v_pk_add_f32 v[0:1], v[20:21], v[22:23]
	v_pk_fma_f32 v[2:3], v[2:3], 0.5, v[20:21] op_sel_hi:[1,0,1] neg_lo:[1,0,0] neg_hi:[1,0,0]
	v_pk_add_f32 v[20:21], v[22:23], v[24:25] neg_lo:[0,1] neg_hi:[0,1]
	v_pk_add_f32 v[0:1], v[0:1], v[24:25]
	v_pk_mul_f32 v[20:21], v[20:21], s[0:1] op_sel_hi:[1,0]
	s_nop 0
	v_pk_add_f32 v[22:23], v[2:3], v[20:21] op_sel:[0,1] op_sel_hi:[1,0]
	v_pk_add_f32 v[2:3], v[2:3], v[20:21] op_sel:[0,1] op_sel_hi:[1,0] neg_lo:[0,1] neg_hi:[0,1]
	v_mov_b32_e32 v20, v22
	v_mov_b32_e32 v21, v3
	ds_write2_b64 v26, v[0:1], v[20:21] offset1:1
	v_mov_b32_e32 v3, v23
	v_pk_add_f32 v[0:1], v[6:7], v[18:19]
	ds_write_b64 v26, v[2:3] offset:16
	v_pk_add_f32 v[0:1], v[4:5], v[0:1]
	v_pk_add_f32 v[2:3], v[4:5], v[18:19]
	v_pk_add_f32 v[4:5], v[18:19], v[4:5] neg_lo:[0,1] neg_hi:[0,1]
	v_pk_fma_f32 v[2:3], v[2:3], 0.5, v[6:7] op_sel_hi:[1,0,1] neg_lo:[1,0,0] neg_hi:[1,0,0]
	v_pk_mul_f32 v[4:5], v[4:5], s[0:1] op_sel_hi:[1,0]
	v_mad_i32_i24 v23, v30, 24, 0
	v_pk_add_f32 v[6:7], v[2:3], v[4:5] op_sel:[0,1] op_sel_hi:[1,0]
	v_pk_add_f32 v[2:3], v[2:3], v[4:5] op_sel:[0,1] op_sel_hi:[1,0] neg_lo:[0,1] neg_hi:[0,1]
	v_mov_b32_e32 v4, v6
	v_mov_b32_e32 v5, v3
	;; [unrolled: 1-line block ×3, first 2 shown]
	v_cmp_gt_u32_e64 s[0:1], 63, v28
	ds_write2_b64 v23, v[0:1], v[4:5] offset1:1
	ds_write_b64 v23, v[2:3] offset:16
	s_and_saveexec_b64 s[4:5], s[0:1]
	s_cbranch_execz .LBB0_17
; %bb.16:
	v_add_u32_e32 v2, 0x2370, v26
	v_mov_b32_e32 v0, v14
	v_mov_b32_e32 v1, v17
	ds_write2_b64 v2, v[12:13], v[0:1] offset1:1
	v_mov_b32_e32 v0, v16
	v_mov_b32_e32 v1, v15
	ds_write_b64 v26, v[0:1] offset:9088
.LBB0_17:
	s_or_b64 exec, exec, s[4:5]
	v_lshlrev_b32_e32 v22, 4, v28
	v_sub_u32_e32 v4, v26, v22
	v_lshlrev_b32_e32 v27, 4, v30
	s_waitcnt lgkmcnt(0)
	s_barrier
	v_sub_u32_e32 v0, v23, v27
	ds_read_b64 v[20:21], v4
	ds_read_b64 v[18:19], v0
	s_waitcnt lgkmcnt(1)
	ds_read_b32 v21, v4 offset:4
	v_add_u32_e32 v0, 0xc00, v4
	v_add_u32_e32 v4, 0x1a00, v4
	ds_read2_b64 v[0:3], v0 offset0:57 offset1:246
	ds_read2_b64 v[4:7], v4 offset0:50 offset1:239
	v_sub_u32_e32 v22, 0, v22
	v_add_u32_e32 v22, v26, v22
	s_and_saveexec_b64 s[4:5], s[0:1]
	s_cbranch_execz .LBB0_19
; %bb.18:
	ds_read_b64 v[14:15], v22 offset:10080
	ds_read_b64 v[24:25], v22 offset:6552
	;; [unrolled: 1-line block ×3, first 2 shown]
	s_waitcnt lgkmcnt(2)
	v_mov_b32_e32 v16, v14
	s_waitcnt lgkmcnt(1)
	v_mov_b32_e32 v17, v25
	v_mov_b32_e32 v14, v24
.LBB0_19:
	s_or_b64 exec, exec, s[4:5]
	s_movk_i32 s4, 0xab
	v_mul_lo_u16_sdwa v25, v28, s4 dst_sel:DWORD dst_unused:UNUSED_PAD src0_sel:BYTE_0 src1_sel:DWORD
	v_lshrrev_b16_e32 v31, 9, v25
	v_mul_lo_u16_e32 v25, 3, v31
	s_mov_b32 s4, 0xaaab
	v_sub_u16_e32 v45, v28, v25
	v_mul_u32_u24_sdwa v25, v30, s4 dst_sel:DWORD dst_unused:UNUSED_PAD src0_sel:WORD_0 src1_sel:DWORD
	v_lshrrev_b32_e32 v47, 17, v25
	v_add_u32_e32 v24, 0x17a, v28
	v_mul_lo_u16_e32 v25, 3, v47
	v_sub_u16_e32 v48, v30, v25
	v_mul_u32_u24_sdwa v25, v24, s4 dst_sel:DWORD dst_unused:UNUSED_PAD src0_sel:WORD_0 src1_sel:DWORD
	v_lshrrev_b32_e32 v25, 17, v25
	v_mul_lo_u16_e32 v26, 3, v25
	v_mov_b32_e32 v40, 4
	v_sub_u16_e32 v26, v24, v26
	v_lshlrev_b32_e32 v32, 4, v26
	v_lshlrev_b32_e32 v36, 4, v48
	v_lshlrev_b32_sdwa v40, v40, v45 dst_sel:DWORD dst_unused:UNUSED_PAD src0_sel:DWORD src1_sel:BYTE_0
	global_load_dwordx4 v[32:35], v32, s[8:9]
	v_mov_b32_e32 v44, v17
	global_load_dwordx4 v[36:39], v36, s[8:9]
	v_mov_b32_e32 v17, 3
	;; [unrolled: 2-line block ×3, first 2 shown]
	v_mul_u32_u24_e32 v47, 0x48, v47
	v_lshlrev_b32_sdwa v17, v17, v45 dst_sel:DWORD dst_unused:UNUSED_PAD src0_sel:DWORD src1_sel:BYTE_0
	v_lshlrev_b32_e32 v45, 3, v48
	v_mul_u32_u24_e32 v31, 0x48, v31
	v_add3_u32 v58, 0, v47, v45
	v_add3_u32 v31, 0, v31, v17
	s_mov_b32 s4, 0x3f5db3d7
	v_sub_u32_e32 v27, 0, v27
	s_waitcnt lgkmcnt(0)
	s_barrier
	s_waitcnt vmcnt(2)
	v_pk_mul_f32 v[44:45], v[44:45], v[32:33] op_sel_hi:[0,1]
	v_pk_mul_f32 v[46:47], v[46:47], v[34:35] op_sel_hi:[0,1]
	s_waitcnt vmcnt(1)
	v_pk_mul_f32 v[48:49], v[36:37], v[2:3] op_sel:[0,1]
	v_pk_mul_f32 v[50:51], v[38:39], v[6:7] op_sel:[0,1]
	s_waitcnt vmcnt(0)
	v_pk_mul_f32 v[52:53], v[40:41], v[0:1] op_sel:[0,1]
	v_pk_mul_f32 v[54:55], v[42:43], v[4:5] op_sel:[0,1]
	v_pk_fma_f32 v[56:57], v[14:15], v[32:33], v[44:45] op_sel:[0,0,1] op_sel_hi:[1,1,0] neg_lo:[0,0,1] neg_hi:[0,0,1]
	v_pk_fma_f32 v[14:15], v[14:15], v[32:33], v[44:45] op_sel:[0,0,1] op_sel_hi:[0,1,0]
	v_pk_fma_f32 v[32:33], v[16:17], v[34:35], v[46:47] op_sel:[0,0,1] op_sel_hi:[1,1,0] neg_lo:[0,0,1] neg_hi:[0,0,1]
	v_pk_fma_f32 v[16:17], v[16:17], v[34:35], v[46:47] op_sel:[0,0,1] op_sel_hi:[0,1,0]
	;; [unrolled: 2-line block ×6, first 2 shown]
	v_mov_b32_e32 v57, v15
	v_mov_b32_e32 v33, v17
	;; [unrolled: 1-line block ×6, first 2 shown]
	v_pk_add_f32 v[0:1], v[12:13], v[56:57]
	v_pk_add_f32 v[2:3], v[56:57], v[32:33]
	v_pk_add_f32 v[4:5], v[56:57], v[32:33] neg_lo:[0,1] neg_hi:[0,1]
	v_pk_add_f32 v[16:17], v[38:39], v[20:21]
	v_pk_add_f32 v[42:43], v[38:39], v[40:41]
	v_pk_add_f32 v[38:39], v[38:39], v[40:41] neg_lo:[0,1] neg_hi:[0,1]
	;; [unrolled: 3-line block ×3, first 2 shown]
	v_pk_add_f32 v[14:15], v[0:1], v[32:33]
	v_pk_fma_f32 v[0:1], v[2:3], 0.5, v[12:13] op_sel_hi:[1,0,1] neg_lo:[1,0,0] neg_hi:[1,0,0]
	v_pk_mul_f32 v[2:3], v[4:5], s[4:5] op_sel_hi:[1,0]
	v_pk_fma_f32 v[20:21], v[42:43], 0.5, v[20:21] op_sel_hi:[1,0,1] neg_lo:[1,0,0] neg_hi:[1,0,0]
	v_pk_mul_f32 v[32:33], v[38:39], s[4:5] op_sel_hi:[1,0]
	v_pk_add_f32 v[4:5], v[6:7], v[36:37]
	v_pk_add_f32 v[6:7], v[16:17], v[40:41]
	v_pk_fma_f32 v[18:19], v[44:45], 0.5, v[18:19] op_sel_hi:[1,0,1] neg_lo:[1,0,0] neg_hi:[1,0,0]
	v_pk_mul_f32 v[34:35], v[34:35], s[4:5] op_sel_hi:[1,0]
	v_pk_add_f32 v[12:13], v[0:1], v[2:3] op_sel:[0,1] op_sel_hi:[1,0]
	v_pk_add_f32 v[16:17], v[0:1], v[2:3] op_sel:[0,1] op_sel_hi:[1,0] neg_lo:[0,1] neg_hi:[0,1]
	v_pk_add_f32 v[0:1], v[20:21], v[32:33] op_sel:[0,1] op_sel_hi:[1,0]
	v_pk_add_f32 v[2:3], v[20:21], v[32:33] op_sel:[0,1] op_sel_hi:[1,0] neg_lo:[0,1] neg_hi:[0,1]
	;; [unrolled: 2-line block ×3, first 2 shown]
	v_mov_b32_e32 v32, v0
	v_mov_b32_e32 v33, v3
	;; [unrolled: 1-line block ×6, first 2 shown]
	ds_write2_b64 v31, v[6:7], v[32:33] offset1:3
	ds_write_b64 v31, v[2:3] offset:48
	ds_write2_b64 v58, v[4:5], v[0:1] offset1:3
	ds_write_b64 v58, v[18:19] offset:48
	s_and_saveexec_b64 s[4:5], s[0:1]
	s_cbranch_execz .LBB0_21
; %bb.20:
	v_mul_lo_u16_e32 v0, 9, v25
	v_lshlrev_b32_e32 v1, 3, v26
	v_lshlrev_b32_e32 v0, 3, v0
	v_add3_u32 v2, 0, v1, v0
	v_mov_b32_e32 v0, v12
	v_mov_b32_e32 v1, v17
	ds_write2_b64 v2, v[14:15], v[0:1] offset1:3
	v_mov_b32_e32 v0, v16
	v_mov_b32_e32 v1, v13
	ds_write_b64 v2, v[0:1] offset:48
.LBB0_21:
	s_or_b64 exec, exec, s[4:5]
	v_add_u32_e32 v0, 0xc00, v22
	v_add_u32_e32 v4, 0x1a00, v22
	s_waitcnt lgkmcnt(0)
	s_barrier
	ds_read2_b64 v[0:3], v0 offset0:57 offset1:246
	ds_read2_b64 v[4:7], v4 offset0:50 offset1:239
	v_add_u32_e32 v23, v23, v27
	ds_read_b64 v[20:21], v22
	ds_read_b64 v[18:19], v23
	s_and_saveexec_b64 s[4:5], s[0:1]
	s_cbranch_execz .LBB0_23
; %bb.22:
	ds_read_b64 v[12:13], v22 offset:10080
	ds_read_b64 v[26:27], v22 offset:6552
	;; [unrolled: 1-line block ×3, first 2 shown]
	s_waitcnt lgkmcnt(2)
	v_mov_b32_e32 v16, v12
	s_waitcnt lgkmcnt(1)
	v_mov_b32_e32 v17, v27
	v_mov_b32_e32 v12, v26
.LBB0_23:
	s_or_b64 exec, exec, s[4:5]
	v_mov_b32_e32 v25, 57
	s_mov_b32 s5, 0xe38f
	v_mul_lo_u16_sdwa v25, v28, v25 dst_sel:DWORD dst_unused:UNUSED_PAD src0_sel:BYTE_0 src1_sel:DWORD
	v_mul_u32_u24_sdwa v31, v30, s5 dst_sel:DWORD dst_unused:UNUSED_PAD src0_sel:WORD_0 src1_sel:DWORD
	v_lshrrev_b16_e32 v26, 9, v25
	v_lshrrev_b32_e32 v38, 19, v31
	v_mul_lo_u16_e32 v25, 9, v26
	v_mul_lo_u16_e32 v31, 9, v38
	v_sub_u16_e32 v27, v28, v25
	v_mov_b32_e32 v25, 4
	v_sub_u16_e32 v39, v30, v31
	v_lshlrev_b32_e32 v30, 4, v39
	v_lshlrev_b32_sdwa v25, v25, v27 dst_sel:DWORD dst_unused:UNUSED_PAD src0_sel:DWORD src1_sel:BYTE_0
	global_load_dwordx4 v[30:33], v30, s[8:9] offset:48
	v_mul_u32_u24_e32 v26, 0xd8, v26
	global_load_dwordx4 v[34:37], v25, s[8:9] offset:48
	v_mov_b32_e32 v25, 3
	v_mul_u32_u24_e32 v38, 0xd8, v38
	v_lshlrev_b32_sdwa v27, v25, v27 dst_sel:DWORD dst_unused:UNUSED_PAD src0_sel:DWORD src1_sel:BYTE_0
	v_lshlrev_b32_e32 v39, 3, v39
	v_add3_u32 v46, 0, v26, v27
	v_add3_u32 v47, 0, v38, v39
	s_mov_b32 s4, 0x3f5db3d7
	s_waitcnt lgkmcnt(0)
	s_barrier
	s_waitcnt vmcnt(1)
	v_pk_mul_f32 v[26:27], v[30:31], v[2:3] op_sel:[0,1]
	v_pk_mul_f32 v[38:39], v[32:33], v[6:7] op_sel:[0,1]
	s_waitcnt vmcnt(0)
	v_pk_mul_f32 v[40:41], v[34:35], v[0:1] op_sel:[0,1]
	v_pk_mul_f32 v[42:43], v[36:37], v[4:5] op_sel:[0,1]
	v_pk_fma_f32 v[44:45], v[30:31], v[2:3], v[26:27] op_sel:[0,0,1] op_sel_hi:[1,1,0] neg_lo:[0,0,1] neg_hi:[0,0,1]
	v_pk_fma_f32 v[2:3], v[30:31], v[2:3], v[26:27] op_sel:[0,0,1] op_sel_hi:[1,0,0]
	v_pk_fma_f32 v[26:27], v[32:33], v[6:7], v[38:39] op_sel:[0,0,1] op_sel_hi:[1,1,0] neg_lo:[0,0,1] neg_hi:[0,0,1]
	v_pk_fma_f32 v[6:7], v[32:33], v[6:7], v[38:39] op_sel:[0,0,1] op_sel_hi:[1,0,0]
	v_pk_fma_f32 v[30:31], v[34:35], v[0:1], v[40:41] op_sel:[0,0,1] op_sel_hi:[1,1,0] neg_lo:[0,0,1] neg_hi:[0,0,1]
	v_pk_fma_f32 v[0:1], v[34:35], v[0:1], v[40:41] op_sel:[0,0,1] op_sel_hi:[1,0,0]
	v_pk_fma_f32 v[32:33], v[36:37], v[4:5], v[42:43] op_sel:[0,0,1] op_sel_hi:[1,1,0] neg_lo:[0,0,1] neg_hi:[0,0,1]
	v_pk_fma_f32 v[4:5], v[36:37], v[4:5], v[42:43] op_sel:[0,0,1] op_sel_hi:[1,0,0]
	v_mov_b32_e32 v31, v1
	v_mov_b32_e32 v33, v5
	;; [unrolled: 1-line block ×4, first 2 shown]
	v_pk_add_f32 v[4:5], v[30:31], v[32:33]
	v_pk_add_f32 v[6:7], v[30:31], v[32:33] neg_lo:[0,1] neg_hi:[0,1]
	v_pk_add_f32 v[0:1], v[18:19], v[44:45]
	v_pk_add_f32 v[2:3], v[30:31], v[20:21]
	;; [unrolled: 1-line block ×3, first 2 shown]
	v_pk_add_f32 v[34:35], v[44:45], v[26:27] neg_lo:[0,1] neg_hi:[0,1]
	v_pk_fma_f32 v[4:5], v[4:5], 0.5, v[20:21] op_sel_hi:[1,0,1] neg_lo:[1,0,0] neg_hi:[1,0,0]
	v_pk_mul_f32 v[6:7], v[6:7], s[4:5] op_sel_hi:[1,0]
	v_pk_add_f32 v[0:1], v[0:1], v[26:27]
	v_pk_fma_f32 v[18:19], v[30:31], 0.5, v[18:19] op_sel_hi:[1,0,1] neg_lo:[1,0,0] neg_hi:[1,0,0]
	v_pk_mul_f32 v[20:21], v[34:35], s[4:5] op_sel_hi:[1,0]
	v_pk_add_f32 v[26:27], v[4:5], v[6:7] op_sel:[0,1] op_sel_hi:[1,0]
	v_pk_add_f32 v[4:5], v[4:5], v[6:7] op_sel:[0,1] op_sel_hi:[1,0] neg_lo:[0,1] neg_hi:[0,1]
	v_pk_add_f32 v[2:3], v[2:3], v[32:33]
	v_pk_add_f32 v[6:7], v[18:19], v[20:21] op_sel:[0,1] op_sel_hi:[1,0]
	v_pk_add_f32 v[18:19], v[18:19], v[20:21] op_sel:[0,1] op_sel_hi:[1,0] neg_lo:[0,1] neg_hi:[0,1]
	v_mov_b32_e32 v20, v26
	v_mov_b32_e32 v21, v5
	;; [unrolled: 1-line block ×6, first 2 shown]
	ds_write2_b64 v46, v[2:3], v[20:21] offset1:9
	ds_write_b64 v46, v[4:5] offset:144
	ds_write2_b64 v47, v[0:1], v[26:27] offset1:9
	ds_write_b64 v47, v[18:19] offset:144
	s_and_saveexec_b64 s[10:11], s[0:1]
	s_cbranch_execz .LBB0_25
; %bb.24:
	v_mul_u32_u24_sdwa v0, v24, s5 dst_sel:DWORD dst_unused:UNUSED_PAD src0_sel:WORD_0 src1_sel:DWORD
	v_lshrrev_b32_e32 v5, 19, v0
	v_mul_lo_u16_e32 v0, 9, v5
	v_sub_u16_e32 v7, v24, v0
	v_lshlrev_b32_e32 v0, 4, v7
	global_load_dwordx4 v[0:3], v0, s[8:9] offset:48
	v_mul_lo_u16_e32 v5, 27, v5
	v_mov_b32_e32 v4, v17
	v_mov_b32_e32 v6, v13
	v_lshlrev_b32_e32 v5, 3, v5
	v_lshlrev_b32_e32 v7, 3, v7
	v_add3_u32 v13, 0, v7, v5
	s_waitcnt vmcnt(0)
	v_pk_mul_f32 v[4:5], v[4:5], v[0:1] op_sel_hi:[0,1]
	v_pk_mul_f32 v[6:7], v[6:7], v[2:3] op_sel_hi:[0,1]
	v_pk_fma_f32 v[18:19], v[12:13], v[0:1], v[4:5] op_sel:[0,0,1] op_sel_hi:[1,1,0] neg_lo:[0,0,1] neg_hi:[0,0,1]
	v_pk_fma_f32 v[0:1], v[12:13], v[0:1], v[4:5] op_sel:[0,0,1] op_sel_hi:[0,1,0]
	v_pk_fma_f32 v[4:5], v[16:17], v[2:3], v[6:7] op_sel:[0,0,1] op_sel_hi:[1,1,0] neg_lo:[0,0,1] neg_hi:[0,0,1]
	v_pk_fma_f32 v[2:3], v[16:17], v[2:3], v[6:7] op_sel:[0,0,1] op_sel_hi:[0,1,0]
	v_mov_b32_e32 v19, v1
	v_mov_b32_e32 v5, v3
	v_pk_add_f32 v[0:1], v[14:15], v[18:19]
	v_pk_add_f32 v[2:3], v[18:19], v[4:5]
	v_pk_add_f32 v[6:7], v[18:19], v[4:5] neg_lo:[0,1] neg_hi:[0,1]
	v_pk_add_f32 v[0:1], v[0:1], v[4:5]
	v_pk_fma_f32 v[2:3], -0.5, v[2:3], v[14:15] op_sel_hi:[0,1,1]
	v_pk_mul_f32 v[4:5], v[6:7], s[4:5] op_sel_hi:[1,0]
	s_nop 0
	v_pk_add_f32 v[6:7], v[2:3], v[4:5] op_sel:[0,1] op_sel_hi:[1,0]
	v_pk_add_f32 v[2:3], v[2:3], v[4:5] op_sel:[0,1] op_sel_hi:[1,0] neg_lo:[0,1] neg_hi:[0,1]
	v_mov_b32_e32 v4, v6
	v_mov_b32_e32 v5, v3
	;; [unrolled: 1-line block ×3, first 2 shown]
	ds_write2_b64 v13, v[0:1], v[4:5] offset1:9
	ds_write_b64 v13, v[2:3] offset:144
.LBB0_25:
	s_or_b64 exec, exec, s[10:11]
	v_mov_b32_e32 v0, 19
	v_mul_lo_u16_sdwa v0, v28, v0 dst_sel:DWORD dst_unused:UNUSED_PAD src0_sel:BYTE_0 src1_sel:DWORD
	v_lshrrev_b16_e32 v3, 9, v0
	v_mul_lo_u16_e32 v0, 27, v3
	v_sub_u16_e32 v24, v28, v0
	v_mov_b32_e32 v0, 6
	v_mul_u32_u24_sdwa v0, v24, v0 dst_sel:DWORD dst_unused:UNUSED_PAD src0_sel:BYTE_0 src1_sel:DWORD
	v_lshlrev_b32_e32 v0, 3, v0
	s_waitcnt lgkmcnt(0)
	s_barrier
	global_load_dwordx4 v[4:7], v0, s[8:9] offset:192
	global_load_dwordx4 v[12:15], v0, s[8:9] offset:208
	;; [unrolled: 1-line block ×3, first 2 shown]
	ds_read_b64 v[20:21], v22
	v_lshl_add_u32 v0, v28, 3, 0
	v_add_u32_e32 v1, 0x1000, v22
	v_add_u32_e32 v2, 0x1c00, v22
	ds_read_b64 v[26:27], v23
	ds_read_b64 v[38:39], v0 offset:3024
	ds_read2_b64 v[30:33], v1 offset0:55 offset1:244
	ds_read2_b64 v[34:37], v2 offset0:49 offset1:238
	v_mul_u32_u24_e32 v3, 0x5e8, v3
	v_lshlrev_b32_sdwa v25, v25, v24 dst_sel:DWORD dst_unused:UNUSED_PAD src0_sel:DWORD src1_sel:BYTE_0
	s_waitcnt lgkmcnt(3)
	v_mov_b32_e32 v24, v27
	v_add3_u32 v3, 0, v3, v25
	s_waitcnt lgkmcnt(2)
	v_mov_b32_e32 v40, v38
	s_waitcnt lgkmcnt(1)
	v_mov_b32_e32 v41, v33
	v_mov_b32_e32 v42, v39
	s_waitcnt lgkmcnt(0)
	v_mov_b32_e32 v44, v34
	v_mov_b32_e32 v45, v31
	;; [unrolled: 1-line block ×6, first 2 shown]
	s_mov_b32 s4, 0x3eae86e6
	s_mov_b32 s5, 0xbf08b237
	;; [unrolled: 1-line block ×12, first 2 shown]
	s_barrier
	s_waitcnt vmcnt(2)
	v_pk_mul_f32 v[50:51], v[4:5], v[26:27] op_sel_hi:[1,0]
	v_mul_f32_e32 v39, v7, v39
	s_waitcnt vmcnt(1)
	v_mul_f32_e32 v25, v12, v31
	v_mov_b32_e32 v54, v7
	v_mov_b32_e32 v55, v15
	;; [unrolled: 1-line block ×3, first 2 shown]
	s_waitcnt vmcnt(0)
	v_mov_b32_e32 v12, v17
	v_mul_f32_e32 v31, v13, v30
	v_mov_b32_e32 v52, v6
	v_mov_b32_e32 v53, v14
	v_mul_f32_e32 v33, v14, v33
	v_mul_f32_e32 v14, v17, v35
	v_mov_b32_e32 v56, v16
	v_pk_fma_f32 v[58:59], v[4:5], v[24:25], v[50:51] op_sel:[0,0,1] op_sel_hi:[1,1,0]
	v_pk_fma_f32 v[4:5], v[4:5], v[26:27], v[50:51] op_sel:[0,1,1] op_sel_hi:[1,1,0] neg_lo:[1,0,0] neg_hi:[1,0,0]
	v_pk_mul_f32 v[26:27], v[18:19], v[36:37] op_sel_hi:[1,0]
	v_fma_f32 v24, v6, v38, -v39
	v_pk_mul_f32 v[38:39], v[54:55], v[40:41]
	v_pk_mul_f32 v[12:13], v[12:13], v[44:45]
	v_fma_f32 v30, v16, v34, -v14
	v_pk_fma_f32 v[34:35], v[18:19], v[48:49], v[26:27] op_sel:[0,0,1] op_sel_hi:[1,1,0]
	v_pk_fma_f32 v[18:19], v[18:19], v[36:37], v[26:27] op_sel:[0,1,1] op_sel_hi:[1,1,0] neg_lo:[1,0,0] neg_hi:[1,0,0]
	v_pk_fma_f32 v[6:7], v[6:7], v[42:43], v[38:39]
	v_pk_fma_f32 v[26:27], v[52:53], v[42:43], v[38:39] neg_lo:[0,0,1] neg_hi:[0,0,1]
	v_pk_fma_f32 v[16:17], v[16:17], v[46:47], v[12:13]
	v_pk_fma_f32 v[12:13], v[56:57], v[46:47], v[12:13] neg_lo:[0,0,1] neg_hi:[0,0,1]
	v_mul_f32_e32 v15, v15, v32
	v_mov_b32_e32 v59, v5
	v_mov_b32_e32 v35, v19
	;; [unrolled: 1-line block ×6, first 2 shown]
	v_pk_add_f32 v[4:5], v[24:25], v[30:31]
	v_mov_b32_e32 v25, v30
	v_pk_add_f32 v[30:31], v[58:59], v[34:35]
	v_pk_add_f32 v[14:15], v[32:33], v[14:15]
	;; [unrolled: 1-line block ×3, first 2 shown]
	v_mov_b32_e32 v19, v24
	v_mov_b32_e32 v24, v5
	;; [unrolled: 1-line block ×7, first 2 shown]
	v_pk_add_f32 v[34:35], v[58:59], v[34:35] neg_lo:[0,1] neg_hi:[0,1]
	v_pk_add_f32 v[18:19], v[18:19], v[24:25] neg_lo:[0,1] neg_hi:[0,1]
	v_pk_add_f32 v[40:41], v[4:5], v[14:15]
	v_pk_add_f32 v[12:13], v[12:13], v[26:27]
	v_pk_add_f32 v[6:7], v[6:7], v[16:17] neg_lo:[0,1] neg_hi:[0,1]
	v_mov_b32_e32 v37, v35
	v_mov_b32_e32 v36, v18
	;; [unrolled: 1-line block ×6, first 2 shown]
	v_pk_add_f32 v[36:37], v[36:37], v[6:7] neg_lo:[0,1] neg_hi:[0,1]
	v_pk_add_f32 v[26:27], v[26:27], v[4:5] neg_lo:[0,1] neg_hi:[0,1]
	v_mov_b32_e32 v15, v41
	v_mov_b32_e32 v42, v12
	;; [unrolled: 1-line block ×3, first 2 shown]
	v_pk_add_f32 v[12:13], v[40:41], v[12:13]
	v_pk_add_f32 v[16:17], v[16:17], v[18:19] neg_lo:[0,1] neg_hi:[0,1]
	v_pk_add_f32 v[24:25], v[6:7], v[18:19]
	v_pk_mul_f32 v[36:37], v[36:37], s[10:11]
	v_pk_add_f32 v[42:43], v[14:15], v[42:43] neg_lo:[0,1] neg_hi:[0,1]
	v_pk_add_f32 v[20:21], v[12:13], v[20:21]
	v_pk_mul_f32 v[26:27], v[26:27], s[20:21]
	v_pk_mul_f32 v[38:39], v[16:17], s[4:5]
	v_pk_add_f32 v[24:25], v[24:25], v[34:35]
	v_pk_mul_f32 v[40:41], v[42:43], s[22:23]
	v_pk_fma_f32 v[12:13], v[12:13], s[18:19], v[20:21] op_sel_hi:[1,0,1]
	v_pk_fma_f32 v[42:43], v[42:43], s[22:23], v[26:27]
	v_pk_fma_f32 v[16:17], v[16:17], s[4:5], v[36:37]
	v_mov_b32_e32 v7, v19
	v_mov_b32_e32 v5, v32
	;; [unrolled: 1-line block ×3, first 2 shown]
	v_pk_add_f32 v[42:43], v[42:43], v[12:13]
	v_pk_fma_f32 v[16:17], v[24:25], s[0:1], v[16:17] op_sel_hi:[1,0,1]
	v_pk_add_f32 v[6:7], v[6:7], v[34:35] neg_lo:[0,1] neg_hi:[0,1]
	v_pk_add_f32 v[4:5], v[4:5], v[14:15] neg_lo:[0,1] neg_hi:[0,1]
	v_mov_b32_e32 v14, v40
	v_mov_b32_e32 v15, v27
	;; [unrolled: 1-line block ×6, first 2 shown]
	v_pk_add_f32 v[44:45], v[42:43], v[16:17]
	v_pk_add_f32 v[16:17], v[42:43], v[16:17] neg_lo:[0,1] neg_hi:[0,1]
	v_pk_fma_f32 v[14:15], v[4:5], s[14:15], v[14:15] op_sel_hi:[1,0,1] neg_lo:[1,0,1] neg_hi:[1,0,1]
	v_pk_fma_f32 v[18:19], v[6:7], s[12:13], v[18:19] op_sel_hi:[1,0,1] neg_lo:[1,0,1] neg_hi:[1,0,1]
	;; [unrolled: 1-line block ×4, first 2 shown]
	v_mov_b32_e32 v42, v44
	v_mov_b32_e32 v43, v17
	v_pk_add_f32 v[14:15], v[14:15], v[12:13]
	v_pk_fma_f32 v[18:19], v[24:25], s[0:1], v[18:19] op_sel_hi:[1,0,1]
	v_pk_add_f32 v[4:5], v[4:5], v[12:13]
	v_pk_fma_f32 v[6:7], v[24:25], s[0:1], v[6:7] op_sel_hi:[1,0,1]
	ds_write2_b64 v3, v[20:21], v[42:43] offset1:27
	v_pk_add_f32 v[20:21], v[14:15], v[18:19]
	v_pk_add_f32 v[14:15], v[14:15], v[18:19] neg_lo:[0,1] neg_hi:[0,1]
	v_pk_add_f32 v[12:13], v[4:5], v[6:7] neg_lo:[0,1] neg_hi:[0,1]
	v_pk_add_f32 v[4:5], v[4:5], v[6:7]
	v_mov_b32_e32 v18, v20
	v_mov_b32_e32 v19, v15
	;; [unrolled: 1-line block ×7, first 2 shown]
	ds_write2_b64 v3, v[18:19], v[6:7] offset0:54 offset1:81
	ds_write2_b64 v3, v[4:5], v[14:15] offset0:108 offset1:135
	ds_write_b64 v3, v[16:17] offset:1296
	s_waitcnt lgkmcnt(0)
	s_barrier
	s_and_saveexec_b64 s[24:25], vcc
	s_cbranch_execz .LBB0_27
; %bb.26:
	v_mul_u32_u24_e32 v3, 6, v28
	v_lshlrev_b32_e32 v3, 3, v3
	global_load_dwordx4 v[4:7], v3, s[8:9] offset:1520
	global_load_dwordx4 v[12:15], v3, s[8:9] offset:1488
	;; [unrolled: 1-line block ×3, first 2 shown]
	v_mul_lo_u32 v28, s3, v10
	v_mul_lo_u32 v34, s2, v11
	v_mad_u64_u32 v[10:11], s[2:3], s2, v10, 0
	ds_read2_b64 v[24:27], v2 offset0:49 offset1:238
	ds_read2_b64 v[30:33], v1 offset0:55 offset1:244
	ds_read_b64 v[2:3], v23
	ds_read_b64 v[0:1], v0 offset:3024
	ds_read_b64 v[20:21], v22
	v_mad_u64_u32 v[22:23], s[2:3], s16, v29, 0
	v_add_u32_e32 v47, 0xbd, v29
	v_add_u32_e32 v49, 0x17a, v29
	;; [unrolled: 1-line block ×6, first 2 shown]
	v_add3_u32 v11, v11, v34, v28
	v_mov_b32_e32 v28, v23
	v_mad_u64_u32 v[34:35], s[2:3], s16, v47, 0
	v_mad_u64_u32 v[36:37], s[2:3], s16, v49, 0
	;; [unrolled: 1-line block ×7, first 2 shown]
	v_lshl_add_u64 v[10:11], v[10:11], 3, s[6:7]
	v_mov_b32_e32 v46, v35
	v_mov_b32_e32 v48, v37
	;; [unrolled: 1-line block ×6, first 2 shown]
	v_lshl_add_u64 v[8:9], v[8:9], 3, v[10:11]
	v_mov_b32_e32 v10, v45
	v_mad_u64_u32 v[46:47], s[2:3], s17, v47, v[46:47]
	v_mad_u64_u32 v[48:49], s[2:3], s17, v49, v[48:49]
	;; [unrolled: 1-line block ×6, first 2 shown]
	v_mov_b32_e32 v35, v46
	v_mov_b32_e32 v37, v48
	v_mov_b32_e32 v39, v50
	v_mov_b32_e32 v41, v52
	v_mov_b32_e32 v43, v28
	v_mov_b32_e32 v45, v10
	v_lshl_add_u64 v[22:23], v[22:23], 3, v[8:9]
	v_lshl_add_u64 v[10:11], v[34:35], 3, v[8:9]
	;; [unrolled: 1-line block ×7, first 2 shown]
	s_waitcnt lgkmcnt(3)
	v_mov_b32_e32 v44, v30
	v_mov_b32_e32 v56, v24
	;; [unrolled: 1-line block ×5, first 2 shown]
	s_waitcnt lgkmcnt(2)
	v_mov_b32_e32 v43, v3
	v_mov_b32_e32 v52, v31
	;; [unrolled: 1-line block ×6, first 2 shown]
	s_waitcnt vmcnt(2)
	v_mul_f32_e32 v46, v4, v25
	v_fmac_f32_e32 v46, v5, v24
	v_mov_b32_e32 v24, v5
	s_waitcnt vmcnt(0)
	v_mov_b32_e32 v25, v16
	s_waitcnt lgkmcnt(1)
	v_mul_f32_e32 v48, v14, v1
	v_mov_b32_e32 v54, v4
	v_mov_b32_e32 v55, v17
	v_pk_mul_f32 v[24:25], v[24:25], v[30:31]
	v_fmac_f32_e32 v48, v15, v0
	v_pk_fma_f32 v[4:5], v[4:5], v[56:57], v[24:25] neg_lo:[0,0,1] neg_hi:[0,0,1]
	v_pk_fma_f32 v[24:25], v[54:55], v[56:57], v[24:25]
	v_mov_b32_e32 v54, v0
	v_mov_b32_e32 v55, v32
	;; [unrolled: 1-line block ×5, first 2 shown]
	v_mul_f32_e32 v3, v13, v3
	v_mov_b32_e32 v30, v14
	v_mov_b32_e32 v31, v19
	v_pk_mul_f32 v[0:1], v[0:1], v[32:33]
	v_fma_f32 v3, v12, v2, -v3
	v_mul_f32_e32 v2, v7, v27
	v_pk_fma_f32 v[14:15], v[14:15], v[54:55], v[0:1] neg_lo:[0,0,1] neg_hi:[0,0,1]
	v_pk_fma_f32 v[0:1], v[30:31], v[54:55], v[0:1]
	v_mov_b32_e32 v54, v17
	v_mov_b32_e32 v55, v6
	v_fma_f32 v27, v6, v26, -v2
	v_mov_b32_e32 v32, v16
	v_mov_b32_e32 v33, v7
	v_pk_mul_f32 v[6:7], v[54:55], v[52:53]
	v_mov_b32_e32 v5, v25
	v_pk_fma_f32 v[16:17], v[16:17], v[44:45], v[6:7] neg_lo:[0,0,1] neg_hi:[0,0,1]
	v_pk_fma_f32 v[6:7], v[32:33], v[44:45], v[6:7]
	v_mov_b32_e32 v32, v18
	v_mov_b32_e32 v18, v19
	;; [unrolled: 1-line block ×4, first 2 shown]
	v_pk_mul_f32 v[12:13], v[18:19], v[42:43]
	v_mov_b32_e32 v15, v1
	v_pk_fma_f32 v[18:19], v[32:33], v[40:41], v[12:13] neg_lo:[0,0,1] neg_hi:[0,0,1]
	v_pk_fma_f32 v[12:13], v[32:33], v[40:41], v[12:13]
	v_mov_b32_e32 v17, v7
	v_mov_b32_e32 v19, v13
	v_pk_add_f32 v[30:31], v[14:15], v[4:5] neg_lo:[0,1] neg_hi:[0,1]
	v_pk_add_f32 v[32:33], v[18:19], v[16:17]
	v_pk_add_f32 v[4:5], v[14:15], v[4:5]
	v_mov_b32_e32 v49, v18
	v_mov_b32_e32 v47, v16
	v_mov_b32_e32 v43, v5
	v_pk_add_f32 v[44:45], v[32:33], v[4:5] neg_lo:[0,1] neg_hi:[0,1]
	v_mov_b32_e32 v55, v5
	v_mov_b32_e32 v6, v7
	;; [unrolled: 1-line block ×3, first 2 shown]
	v_pk_add_f32 v[16:17], v[48:49], v[46:47] neg_lo:[0,1] neg_hi:[0,1]
	v_mov_b32_e32 v0, v13
	v_mov_b32_e32 v5, v30
	;; [unrolled: 1-line block ×4, first 2 shown]
	v_add_f32_e32 v51, v48, v46
	v_add_f32_e32 v42, v3, v27
	v_pk_add_f32 v[6:7], v[0:1], v[6:7] neg_lo:[0,1] neg_hi:[0,1]
	v_pk_add_f32 v[12:13], v[16:17], v[4:5]
	v_pk_add_f32 v[0:1], v[2:3], v[26:27] neg_lo:[0,1] neg_hi:[0,1]
	v_add_f32_e32 v41, v33, v51
	v_mov_b32_e32 v50, v32
	v_add_f32_e32 v54, v42, v4
	v_mov_b32_e32 v40, v32
	v_mov_b32_e32 v7, v13
	;; [unrolled: 1-line block ×6, first 2 shown]
	v_pk_add_f32 v[14:15], v[42:43], v[50:51] neg_lo:[0,1] neg_hi:[0,1]
	v_pk_add_f32 v[40:41], v[54:55], v[40:41]
	v_pk_add_f32 v[2:3], v[2:3], v[12:13] neg_lo:[0,1] neg_hi:[0,1]
	v_pk_add_f32 v[24:25], v[0:1], v[16:17]
	v_pk_mul_f32 v[14:15], v[14:15], s[22:23]
	s_waitcnt lgkmcnt(0)
	v_pk_add_f32 v[20:21], v[40:41], v[20:21]
	v_pk_mul_f32 v[2:3], v[2:3], s[4:5]
	v_pk_add_f32 v[12:13], v[0:1], v[16:17] neg_lo:[0,1] neg_hi:[0,1]
	v_mov_b32_e32 v25, v1
	v_pk_mul_f32 v[52:53], v[44:45], s[20:21]
	v_pk_fma_f32 v[44:45], v[44:45], s[20:21], v[14:15]
	v_pk_fma_f32 v[40:41], v[40:41], s[18:19], v[20:21] op_sel_hi:[1,0,1]
	v_pk_mul_f32 v[18:19], v[12:13], s[10:11]
	v_pk_fma_f32 v[12:13], v[12:13], s[10:11], v[2:3]
	v_pk_add_f32 v[24:25], v[24:25], v[6:7]
	v_pk_add_f32 v[44:45], v[44:45], v[40:41]
	v_pk_fma_f32 v[12:13], v[24:25], s[0:1], v[12:13] op_sel_hi:[1,0,1]
	global_store_dwordx2 v[22:23], v[20:21], off
	v_pk_add_f32 v[26:27], v[44:45], v[12:13] neg_lo:[0,1] neg_hi:[0,1]
	v_pk_add_f32 v[12:13], v[44:45], v[12:13]
	v_mov_b32_e32 v21, v27
	v_mov_b32_e32 v20, v12
	;; [unrolled: 1-line block ×6, first 2 shown]
	global_store_dwordx2 v[10:11], v[20:21], off
	v_mov_b32_e32 v10, v14
	v_mov_b32_e32 v11, v53
	v_pk_add_f32 v[4:5], v[4:5], v[42:43] neg_lo:[0,1] neg_hi:[0,1]
	v_pk_add_f32 v[0:1], v[16:17], v[6:7] neg_lo:[0,1] neg_hi:[0,1]
	v_mov_b32_e32 v6, v2
	v_mov_b32_e32 v7, v19
	;; [unrolled: 1-line block ×4, first 2 shown]
	v_pk_fma_f32 v[10:11], v[4:5], s[14:15], v[10:11] op_sel_hi:[1,0,1] neg_lo:[1,0,1] neg_hi:[1,0,1]
	v_pk_fma_f32 v[6:7], v[0:1], s[12:13], v[6:7] op_sel_hi:[1,0,1] neg_lo:[1,0,1] neg_hi:[1,0,1]
	;; [unrolled: 1-line block ×4, first 2 shown]
	v_pk_add_f32 v[10:11], v[10:11], v[40:41]
	v_pk_fma_f32 v[6:7], v[24:25], s[0:1], v[6:7] op_sel_hi:[1,0,1]
	v_pk_add_f32 v[4:5], v[4:5], v[40:41]
	v_pk_fma_f32 v[0:1], v[24:25], s[0:1], v[0:1] op_sel_hi:[1,0,1]
	v_pk_add_f32 v[16:17], v[10:11], v[6:7] neg_lo:[0,1] neg_hi:[0,1]
	v_pk_add_f32 v[6:7], v[10:11], v[6:7]
	v_pk_add_f32 v[2:3], v[4:5], v[0:1]
	v_pk_add_f32 v[0:1], v[4:5], v[0:1] neg_lo:[0,1] neg_hi:[0,1]
	v_mov_b32_e32 v10, v6
	v_mov_b32_e32 v11, v17
	;; [unrolled: 1-line block ×7, first 2 shown]
	global_store_dwordx2 v[28:29], v[10:11], off
	global_store_dwordx2 v[34:35], v[4:5], off
	;; [unrolled: 1-line block ×5, first 2 shown]
.LBB0_27:
	s_endpgm
	.section	.rodata,"a",@progbits
	.p2align	6, 0x0
	.amdhsa_kernel fft_rtc_fwd_len1323_factors_3_3_3_7_7_wgs_189_tpt_189_sp_op_CI_CI_sbrr_dirReg
		.amdhsa_group_segment_fixed_size 0
		.amdhsa_private_segment_fixed_size 0
		.amdhsa_kernarg_size 104
		.amdhsa_user_sgpr_count 2
		.amdhsa_user_sgpr_dispatch_ptr 0
		.amdhsa_user_sgpr_queue_ptr 0
		.amdhsa_user_sgpr_kernarg_segment_ptr 1
		.amdhsa_user_sgpr_dispatch_id 0
		.amdhsa_user_sgpr_kernarg_preload_length 0
		.amdhsa_user_sgpr_kernarg_preload_offset 0
		.amdhsa_user_sgpr_private_segment_size 0
		.amdhsa_uses_dynamic_stack 0
		.amdhsa_enable_private_segment 0
		.amdhsa_system_sgpr_workgroup_id_x 1
		.amdhsa_system_sgpr_workgroup_id_y 0
		.amdhsa_system_sgpr_workgroup_id_z 0
		.amdhsa_system_sgpr_workgroup_info 0
		.amdhsa_system_vgpr_workitem_id 0
		.amdhsa_next_free_vgpr 60
		.amdhsa_next_free_sgpr 32
		.amdhsa_accum_offset 60
		.amdhsa_reserve_vcc 1
		.amdhsa_float_round_mode_32 0
		.amdhsa_float_round_mode_16_64 0
		.amdhsa_float_denorm_mode_32 3
		.amdhsa_float_denorm_mode_16_64 3
		.amdhsa_dx10_clamp 1
		.amdhsa_ieee_mode 1
		.amdhsa_fp16_overflow 0
		.amdhsa_tg_split 0
		.amdhsa_exception_fp_ieee_invalid_op 0
		.amdhsa_exception_fp_denorm_src 0
		.amdhsa_exception_fp_ieee_div_zero 0
		.amdhsa_exception_fp_ieee_overflow 0
		.amdhsa_exception_fp_ieee_underflow 0
		.amdhsa_exception_fp_ieee_inexact 0
		.amdhsa_exception_int_div_zero 0
	.end_amdhsa_kernel
	.text
.Lfunc_end0:
	.size	fft_rtc_fwd_len1323_factors_3_3_3_7_7_wgs_189_tpt_189_sp_op_CI_CI_sbrr_dirReg, .Lfunc_end0-fft_rtc_fwd_len1323_factors_3_3_3_7_7_wgs_189_tpt_189_sp_op_CI_CI_sbrr_dirReg
                                        ; -- End function
	.section	.AMDGPU.csdata,"",@progbits
; Kernel info:
; codeLenInByte = 6060
; NumSgprs: 38
; NumVgprs: 60
; NumAgprs: 0
; TotalNumVgprs: 60
; ScratchSize: 0
; MemoryBound: 0
; FloatMode: 240
; IeeeMode: 1
; LDSByteSize: 0 bytes/workgroup (compile time only)
; SGPRBlocks: 4
; VGPRBlocks: 7
; NumSGPRsForWavesPerEU: 38
; NumVGPRsForWavesPerEU: 60
; AccumOffset: 60
; Occupancy: 8
; WaveLimiterHint : 1
; COMPUTE_PGM_RSRC2:SCRATCH_EN: 0
; COMPUTE_PGM_RSRC2:USER_SGPR: 2
; COMPUTE_PGM_RSRC2:TRAP_HANDLER: 0
; COMPUTE_PGM_RSRC2:TGID_X_EN: 1
; COMPUTE_PGM_RSRC2:TGID_Y_EN: 0
; COMPUTE_PGM_RSRC2:TGID_Z_EN: 0
; COMPUTE_PGM_RSRC2:TIDIG_COMP_CNT: 0
; COMPUTE_PGM_RSRC3_GFX90A:ACCUM_OFFSET: 14
; COMPUTE_PGM_RSRC3_GFX90A:TG_SPLIT: 0
	.text
	.p2alignl 6, 3212836864
	.fill 256, 4, 3212836864
	.type	__hip_cuid_76fafe8fc23c41b3,@object ; @__hip_cuid_76fafe8fc23c41b3
	.section	.bss,"aw",@nobits
	.globl	__hip_cuid_76fafe8fc23c41b3
__hip_cuid_76fafe8fc23c41b3:
	.byte	0                               ; 0x0
	.size	__hip_cuid_76fafe8fc23c41b3, 1

	.ident	"AMD clang version 19.0.0git (https://github.com/RadeonOpenCompute/llvm-project roc-6.4.0 25133 c7fe45cf4b819c5991fe208aaa96edf142730f1d)"
	.section	".note.GNU-stack","",@progbits
	.addrsig
	.addrsig_sym __hip_cuid_76fafe8fc23c41b3
	.amdgpu_metadata
---
amdhsa.kernels:
  - .agpr_count:     0
    .args:
      - .actual_access:  read_only
        .address_space:  global
        .offset:         0
        .size:           8
        .value_kind:     global_buffer
      - .offset:         8
        .size:           8
        .value_kind:     by_value
      - .actual_access:  read_only
        .address_space:  global
        .offset:         16
        .size:           8
        .value_kind:     global_buffer
      - .actual_access:  read_only
        .address_space:  global
        .offset:         24
        .size:           8
        .value_kind:     global_buffer
      - .actual_access:  read_only
        .address_space:  global
        .offset:         32
        .size:           8
        .value_kind:     global_buffer
      - .offset:         40
        .size:           8
        .value_kind:     by_value
      - .actual_access:  read_only
        .address_space:  global
        .offset:         48
        .size:           8
        .value_kind:     global_buffer
      - .actual_access:  read_only
        .address_space:  global
        .offset:         56
        .size:           8
        .value_kind:     global_buffer
      - .offset:         64
        .size:           4
        .value_kind:     by_value
      - .actual_access:  read_only
        .address_space:  global
        .offset:         72
        .size:           8
        .value_kind:     global_buffer
      - .actual_access:  read_only
        .address_space:  global
        .offset:         80
        .size:           8
        .value_kind:     global_buffer
      - .actual_access:  read_only
        .address_space:  global
        .offset:         88
        .size:           8
        .value_kind:     global_buffer
      - .actual_access:  write_only
        .address_space:  global
        .offset:         96
        .size:           8
        .value_kind:     global_buffer
    .group_segment_fixed_size: 0
    .kernarg_segment_align: 8
    .kernarg_segment_size: 104
    .language:       OpenCL C
    .language_version:
      - 2
      - 0
    .max_flat_workgroup_size: 189
    .name:           fft_rtc_fwd_len1323_factors_3_3_3_7_7_wgs_189_tpt_189_sp_op_CI_CI_sbrr_dirReg
    .private_segment_fixed_size: 0
    .sgpr_count:     38
    .sgpr_spill_count: 0
    .symbol:         fft_rtc_fwd_len1323_factors_3_3_3_7_7_wgs_189_tpt_189_sp_op_CI_CI_sbrr_dirReg.kd
    .uniform_work_group_size: 1
    .uses_dynamic_stack: false
    .vgpr_count:     60
    .vgpr_spill_count: 0
    .wavefront_size: 64
amdhsa.target:   amdgcn-amd-amdhsa--gfx950
amdhsa.version:
  - 1
  - 2
...

	.end_amdgpu_metadata
